;; amdgpu-corpus repo=ROCm/rocFFT kind=compiled arch=gfx1201 opt=O3
	.text
	.amdgcn_target "amdgcn-amd-amdhsa--gfx1201"
	.amdhsa_code_object_version 6
	.protected	fft_rtc_fwd_len756_factors_2_2_3_3_3_7_wgs_63_tpt_63_half_ip_CI_unitstride_sbrr_C2R_dirReg ; -- Begin function fft_rtc_fwd_len756_factors_2_2_3_3_3_7_wgs_63_tpt_63_half_ip_CI_unitstride_sbrr_C2R_dirReg
	.globl	fft_rtc_fwd_len756_factors_2_2_3_3_3_7_wgs_63_tpt_63_half_ip_CI_unitstride_sbrr_C2R_dirReg
	.p2align	8
	.type	fft_rtc_fwd_len756_factors_2_2_3_3_3_7_wgs_63_tpt_63_half_ip_CI_unitstride_sbrr_C2R_dirReg,@function
fft_rtc_fwd_len756_factors_2_2_3_3_3_7_wgs_63_tpt_63_half_ip_CI_unitstride_sbrr_C2R_dirReg: ; @fft_rtc_fwd_len756_factors_2_2_3_3_3_7_wgs_63_tpt_63_half_ip_CI_unitstride_sbrr_C2R_dirReg
; %bb.0:
	s_clause 0x2
	s_load_b128 s[4:7], s[0:1], 0x0
	s_load_b64 s[8:9], s[0:1], 0x50
	s_load_b64 s[10:11], s[0:1], 0x18
	v_mul_u32_u24_e32 v1, 0x411, v0
	v_mov_b32_e32 v3, 0
	s_delay_alu instid0(VALU_DEP_2) | instskip(NEXT) | instid1(VALU_DEP_1)
	v_lshrrev_b32_e32 v1, 16, v1
	v_add_nc_u32_e32 v5, ttmp9, v1
	v_mov_b32_e32 v1, 0
	v_mov_b32_e32 v2, 0
	;; [unrolled: 1-line block ×3, first 2 shown]
	s_wait_kmcnt 0x0
	v_cmp_lt_u64_e64 s2, s[6:7], 2
	s_delay_alu instid0(VALU_DEP_1)
	s_and_b32 vcc_lo, exec_lo, s2
	s_cbranch_vccnz .LBB0_8
; %bb.1:
	s_load_b64 s[2:3], s[0:1], 0x10
	v_mov_b32_e32 v1, 0
	v_mov_b32_e32 v2, 0
	s_add_nc_u64 s[12:13], s[10:11], 8
	s_mov_b64 s[14:15], 1
	s_wait_kmcnt 0x0
	s_add_nc_u64 s[16:17], s[2:3], 8
	s_mov_b32 s3, 0
.LBB0_2:                                ; =>This Inner Loop Header: Depth=1
	s_load_b64 s[18:19], s[16:17], 0x0
                                        ; implicit-def: $vgpr7_vgpr8
	s_mov_b32 s2, exec_lo
	s_wait_kmcnt 0x0
	v_or_b32_e32 v4, s19, v6
	s_delay_alu instid0(VALU_DEP_1)
	v_cmpx_ne_u64_e32 0, v[3:4]
	s_wait_alu 0xfffe
	s_xor_b32 s20, exec_lo, s2
	s_cbranch_execz .LBB0_4
; %bb.3:                                ;   in Loop: Header=BB0_2 Depth=1
	s_cvt_f32_u32 s2, s18
	s_cvt_f32_u32 s21, s19
	s_sub_nc_u64 s[24:25], 0, s[18:19]
	s_wait_alu 0xfffe
	s_delay_alu instid0(SALU_CYCLE_1) | instskip(SKIP_1) | instid1(SALU_CYCLE_2)
	s_fmamk_f32 s2, s21, 0x4f800000, s2
	s_wait_alu 0xfffe
	v_s_rcp_f32 s2, s2
	s_delay_alu instid0(TRANS32_DEP_1) | instskip(SKIP_1) | instid1(SALU_CYCLE_2)
	s_mul_f32 s2, s2, 0x5f7ffffc
	s_wait_alu 0xfffe
	s_mul_f32 s21, s2, 0x2f800000
	s_wait_alu 0xfffe
	s_delay_alu instid0(SALU_CYCLE_2) | instskip(SKIP_1) | instid1(SALU_CYCLE_2)
	s_trunc_f32 s21, s21
	s_wait_alu 0xfffe
	s_fmamk_f32 s2, s21, 0xcf800000, s2
	s_cvt_u32_f32 s23, s21
	s_wait_alu 0xfffe
	s_delay_alu instid0(SALU_CYCLE_1) | instskip(SKIP_1) | instid1(SALU_CYCLE_2)
	s_cvt_u32_f32 s22, s2
	s_wait_alu 0xfffe
	s_mul_u64 s[26:27], s[24:25], s[22:23]
	s_wait_alu 0xfffe
	s_mul_hi_u32 s29, s22, s27
	s_mul_i32 s28, s22, s27
	s_mul_hi_u32 s2, s22, s26
	s_mul_i32 s30, s23, s26
	s_wait_alu 0xfffe
	s_add_nc_u64 s[28:29], s[2:3], s[28:29]
	s_mul_hi_u32 s21, s23, s26
	s_mul_hi_u32 s31, s23, s27
	s_add_co_u32 s2, s28, s30
	s_wait_alu 0xfffe
	s_add_co_ci_u32 s2, s29, s21
	s_mul_i32 s26, s23, s27
	s_add_co_ci_u32 s27, s31, 0
	s_wait_alu 0xfffe
	s_add_nc_u64 s[26:27], s[2:3], s[26:27]
	s_wait_alu 0xfffe
	v_add_co_u32 v4, s2, s22, s26
	s_delay_alu instid0(VALU_DEP_1) | instskip(SKIP_1) | instid1(VALU_DEP_1)
	s_cmp_lg_u32 s2, 0
	s_add_co_ci_u32 s23, s23, s27
	v_readfirstlane_b32 s22, v4
	s_wait_alu 0xfffe
	s_delay_alu instid0(VALU_DEP_1)
	s_mul_u64 s[24:25], s[24:25], s[22:23]
	s_wait_alu 0xfffe
	s_mul_hi_u32 s27, s22, s25
	s_mul_i32 s26, s22, s25
	s_mul_hi_u32 s2, s22, s24
	s_mul_i32 s28, s23, s24
	s_wait_alu 0xfffe
	s_add_nc_u64 s[26:27], s[2:3], s[26:27]
	s_mul_hi_u32 s21, s23, s24
	s_mul_hi_u32 s22, s23, s25
	s_wait_alu 0xfffe
	s_add_co_u32 s2, s26, s28
	s_add_co_ci_u32 s2, s27, s21
	s_mul_i32 s24, s23, s25
	s_add_co_ci_u32 s25, s22, 0
	s_wait_alu 0xfffe
	s_add_nc_u64 s[24:25], s[2:3], s[24:25]
	s_wait_alu 0xfffe
	v_add_co_u32 v4, s2, v4, s24
	s_delay_alu instid0(VALU_DEP_1) | instskip(SKIP_1) | instid1(VALU_DEP_1)
	s_cmp_lg_u32 s2, 0
	s_add_co_ci_u32 s2, s23, s25
	v_mul_hi_u32 v13, v5, v4
	s_wait_alu 0xfffe
	v_mad_co_u64_u32 v[7:8], null, v5, s2, 0
	v_mad_co_u64_u32 v[9:10], null, v6, v4, 0
	;; [unrolled: 1-line block ×3, first 2 shown]
	s_delay_alu instid0(VALU_DEP_3) | instskip(SKIP_1) | instid1(VALU_DEP_4)
	v_add_co_u32 v4, vcc_lo, v13, v7
	s_wait_alu 0xfffd
	v_add_co_ci_u32_e32 v7, vcc_lo, 0, v8, vcc_lo
	s_delay_alu instid0(VALU_DEP_2) | instskip(SKIP_1) | instid1(VALU_DEP_2)
	v_add_co_u32 v4, vcc_lo, v4, v9
	s_wait_alu 0xfffd
	v_add_co_ci_u32_e32 v4, vcc_lo, v7, v10, vcc_lo
	s_wait_alu 0xfffd
	v_add_co_ci_u32_e32 v7, vcc_lo, 0, v12, vcc_lo
	s_delay_alu instid0(VALU_DEP_2) | instskip(SKIP_1) | instid1(VALU_DEP_2)
	v_add_co_u32 v4, vcc_lo, v4, v11
	s_wait_alu 0xfffd
	v_add_co_ci_u32_e32 v9, vcc_lo, 0, v7, vcc_lo
	s_delay_alu instid0(VALU_DEP_2) | instskip(SKIP_1) | instid1(VALU_DEP_3)
	v_mul_lo_u32 v10, s19, v4
	v_mad_co_u64_u32 v[7:8], null, s18, v4, 0
	v_mul_lo_u32 v11, s18, v9
	s_delay_alu instid0(VALU_DEP_2) | instskip(NEXT) | instid1(VALU_DEP_2)
	v_sub_co_u32 v7, vcc_lo, v5, v7
	v_add3_u32 v8, v8, v11, v10
	s_delay_alu instid0(VALU_DEP_1) | instskip(SKIP_1) | instid1(VALU_DEP_1)
	v_sub_nc_u32_e32 v10, v6, v8
	s_wait_alu 0xfffd
	v_subrev_co_ci_u32_e64 v10, s2, s19, v10, vcc_lo
	v_add_co_u32 v11, s2, v4, 2
	s_wait_alu 0xf1ff
	v_add_co_ci_u32_e64 v12, s2, 0, v9, s2
	v_sub_co_u32 v13, s2, v7, s18
	v_sub_co_ci_u32_e32 v8, vcc_lo, v6, v8, vcc_lo
	s_wait_alu 0xf1ff
	v_subrev_co_ci_u32_e64 v10, s2, 0, v10, s2
	s_delay_alu instid0(VALU_DEP_3) | instskip(NEXT) | instid1(VALU_DEP_3)
	v_cmp_le_u32_e32 vcc_lo, s18, v13
	v_cmp_eq_u32_e64 s2, s19, v8
	s_wait_alu 0xfffd
	v_cndmask_b32_e64 v13, 0, -1, vcc_lo
	v_cmp_le_u32_e32 vcc_lo, s19, v10
	s_wait_alu 0xfffd
	v_cndmask_b32_e64 v14, 0, -1, vcc_lo
	v_cmp_le_u32_e32 vcc_lo, s18, v7
	;; [unrolled: 3-line block ×3, first 2 shown]
	s_wait_alu 0xfffd
	v_cndmask_b32_e64 v15, 0, -1, vcc_lo
	v_cmp_eq_u32_e32 vcc_lo, s19, v10
	s_wait_alu 0xf1ff
	s_delay_alu instid0(VALU_DEP_2)
	v_cndmask_b32_e64 v7, v15, v7, s2
	s_wait_alu 0xfffd
	v_cndmask_b32_e32 v10, v14, v13, vcc_lo
	v_add_co_u32 v13, vcc_lo, v4, 1
	s_wait_alu 0xfffd
	v_add_co_ci_u32_e32 v14, vcc_lo, 0, v9, vcc_lo
	s_delay_alu instid0(VALU_DEP_3) | instskip(SKIP_2) | instid1(VALU_DEP_3)
	v_cmp_ne_u32_e32 vcc_lo, 0, v10
	s_wait_alu 0xfffd
	v_cndmask_b32_e32 v10, v13, v11, vcc_lo
	v_cndmask_b32_e32 v8, v14, v12, vcc_lo
	v_cmp_ne_u32_e32 vcc_lo, 0, v7
	s_wait_alu 0xfffd
	s_delay_alu instid0(VALU_DEP_2)
	v_dual_cndmask_b32 v7, v4, v10 :: v_dual_cndmask_b32 v8, v9, v8
.LBB0_4:                                ;   in Loop: Header=BB0_2 Depth=1
	s_wait_alu 0xfffe
	s_and_not1_saveexec_b32 s2, s20
	s_cbranch_execz .LBB0_6
; %bb.5:                                ;   in Loop: Header=BB0_2 Depth=1
	v_cvt_f32_u32_e32 v4, s18
	s_sub_co_i32 s20, 0, s18
	s_delay_alu instid0(VALU_DEP_1) | instskip(NEXT) | instid1(TRANS32_DEP_1)
	v_rcp_iflag_f32_e32 v4, v4
	v_mul_f32_e32 v4, 0x4f7ffffe, v4
	s_delay_alu instid0(VALU_DEP_1) | instskip(SKIP_1) | instid1(VALU_DEP_1)
	v_cvt_u32_f32_e32 v4, v4
	s_wait_alu 0xfffe
	v_mul_lo_u32 v7, s20, v4
	s_delay_alu instid0(VALU_DEP_1) | instskip(NEXT) | instid1(VALU_DEP_1)
	v_mul_hi_u32 v7, v4, v7
	v_add_nc_u32_e32 v4, v4, v7
	s_delay_alu instid0(VALU_DEP_1) | instskip(NEXT) | instid1(VALU_DEP_1)
	v_mul_hi_u32 v4, v5, v4
	v_mul_lo_u32 v7, v4, s18
	v_add_nc_u32_e32 v8, 1, v4
	s_delay_alu instid0(VALU_DEP_2) | instskip(NEXT) | instid1(VALU_DEP_1)
	v_sub_nc_u32_e32 v7, v5, v7
	v_subrev_nc_u32_e32 v9, s18, v7
	v_cmp_le_u32_e32 vcc_lo, s18, v7
	s_wait_alu 0xfffd
	s_delay_alu instid0(VALU_DEP_2) | instskip(NEXT) | instid1(VALU_DEP_1)
	v_dual_cndmask_b32 v7, v7, v9 :: v_dual_cndmask_b32 v4, v4, v8
	v_cmp_le_u32_e32 vcc_lo, s18, v7
	s_delay_alu instid0(VALU_DEP_2) | instskip(SKIP_1) | instid1(VALU_DEP_1)
	v_add_nc_u32_e32 v8, 1, v4
	s_wait_alu 0xfffd
	v_dual_cndmask_b32 v7, v4, v8 :: v_dual_mov_b32 v8, v3
.LBB0_6:                                ;   in Loop: Header=BB0_2 Depth=1
	s_wait_alu 0xfffe
	s_or_b32 exec_lo, exec_lo, s2
	s_load_b64 s[20:21], s[12:13], 0x0
	s_delay_alu instid0(VALU_DEP_1)
	v_mul_lo_u32 v4, v8, s18
	v_mul_lo_u32 v11, v7, s19
	v_mad_co_u64_u32 v[9:10], null, v7, s18, 0
	s_add_nc_u64 s[14:15], s[14:15], 1
	s_add_nc_u64 s[12:13], s[12:13], 8
	s_wait_alu 0xfffe
	v_cmp_ge_u64_e64 s2, s[14:15], s[6:7]
	s_add_nc_u64 s[16:17], s[16:17], 8
	s_delay_alu instid0(VALU_DEP_2) | instskip(NEXT) | instid1(VALU_DEP_3)
	v_add3_u32 v4, v10, v11, v4
	v_sub_co_u32 v5, vcc_lo, v5, v9
	s_wait_alu 0xfffd
	s_delay_alu instid0(VALU_DEP_2) | instskip(SKIP_3) | instid1(VALU_DEP_2)
	v_sub_co_ci_u32_e32 v4, vcc_lo, v6, v4, vcc_lo
	s_and_b32 vcc_lo, exec_lo, s2
	s_wait_kmcnt 0x0
	v_mul_lo_u32 v6, s21, v5
	v_mul_lo_u32 v4, s20, v4
	v_mad_co_u64_u32 v[1:2], null, s20, v5, v[1:2]
	s_delay_alu instid0(VALU_DEP_1)
	v_add3_u32 v2, v6, v2, v4
	s_wait_alu 0xfffe
	s_cbranch_vccnz .LBB0_9
; %bb.7:                                ;   in Loop: Header=BB0_2 Depth=1
	v_dual_mov_b32 v5, v7 :: v_dual_mov_b32 v6, v8
	s_branch .LBB0_2
.LBB0_8:
	v_dual_mov_b32 v8, v6 :: v_dual_mov_b32 v7, v5
.LBB0_9:
	s_lshl_b64 s[2:3], s[6:7], 3
	v_mul_hi_u32 v5, 0x4104105, v0
	s_wait_alu 0xfffe
	s_add_nc_u64 s[2:3], s[10:11], s[2:3]
	s_load_b64 s[2:3], s[2:3], 0x0
	s_load_b64 s[0:1], s[0:1], 0x20
	s_wait_kmcnt 0x0
	v_mul_lo_u32 v3, s2, v8
	v_mul_lo_u32 v4, s3, v7
	v_mad_co_u64_u32 v[1:2], null, s2, v7, v[1:2]
	v_cmp_gt_u64_e32 vcc_lo, s[0:1], v[7:8]
	s_delay_alu instid0(VALU_DEP_2) | instskip(SKIP_1) | instid1(VALU_DEP_2)
	v_add3_u32 v2, v4, v2, v3
	v_mul_u32_u24_e32 v4, 63, v5
	v_lshlrev_b64_e32 v[2:3], 2, v[1:2]
	s_delay_alu instid0(VALU_DEP_2)
	v_sub_nc_u32_e32 v0, v0, v4
	s_and_saveexec_b32 s1, vcc_lo
	s_cbranch_execz .LBB0_13
; %bb.10:
	v_mov_b32_e32 v1, 0
	s_delay_alu instid0(VALU_DEP_3) | instskip(SKIP_2) | instid1(VALU_DEP_3)
	v_add_co_u32 v4, s0, s8, v2
	s_wait_alu 0xf1ff
	v_add_co_ci_u32_e64 v5, s0, s9, v3, s0
	v_lshlrev_b64_e32 v[6:7], 2, v[0:1]
	s_mov_b32 s2, exec_lo
	s_delay_alu instid0(VALU_DEP_1) | instskip(SKIP_1) | instid1(VALU_DEP_2)
	v_add_co_u32 v6, s0, v4, v6
	s_wait_alu 0xf1ff
	v_add_co_ci_u32_e64 v7, s0, v5, v7, s0
	s_clause 0xb
	global_load_b32 v8, v[6:7], off
	global_load_b32 v9, v[6:7], off offset:252
	global_load_b32 v10, v[6:7], off offset:504
	;; [unrolled: 1-line block ×11, first 2 shown]
	v_lshl_add_u32 v7, v0, 2, 0
	s_delay_alu instid0(VALU_DEP_1)
	v_add_nc_u32_e32 v20, 0x400, v7
	v_add_nc_u32_e32 v19, 0x200, v7
	;; [unrolled: 1-line block ×4, first 2 shown]
	s_wait_loadcnt 0xa
	ds_store_2addr_b32 v7, v8, v9 offset1:63
	s_wait_loadcnt 0x8
	ds_store_2addr_b32 v7, v10, v11 offset0:126 offset1:189
	s_wait_loadcnt 0x6
	ds_store_2addr_b32 v19, v12, v13 offset0:124 offset1:187
	;; [unrolled: 2-line block ×5, first 2 shown]
	v_cmpx_eq_u32_e32 62, v0
	s_cbranch_execz .LBB0_12
; %bb.11:
	global_load_b32 v4, v[4:5], off offset:3024
	v_mov_b32_e32 v0, 62
	s_wait_loadcnt 0x0
	ds_store_b32 v1, v4 offset:3024
.LBB0_12:
	s_wait_alu 0xfffe
	s_or_b32 exec_lo, exec_lo, s2
.LBB0_13:
	s_wait_alu 0xfffe
	s_or_b32 exec_lo, exec_lo, s1
	v_lshlrev_b32_e32 v1, 2, v0
	global_wb scope:SCOPE_SE
	s_wait_dscnt 0x0
	s_barrier_signal -1
	s_barrier_wait -1
	global_inv scope:SCOPE_SE
	v_add_nc_u32_e32 v18, 0, v1
	v_sub_nc_u32_e32 v7, 0, v1
	s_mov_b32 s1, exec_lo
                                        ; implicit-def: $vgpr4_vgpr5
	ds_load_u16 v9, v18
	ds_load_u16 v10, v7 offset:3024
	s_wait_dscnt 0x0
	v_add_f16_e32 v8, v10, v9
	v_sub_f16_e32 v6, v9, v10
	v_cmpx_ne_u32_e32 0, v0
	s_wait_alu 0xfffe
	s_xor_b32 s1, exec_lo, s1
	s_cbranch_execz .LBB0_15
; %bb.14:
	v_mov_b32_e32 v1, 0
	v_add_f16_e32 v8, v10, v9
	v_sub_f16_e32 v9, v9, v10
	s_delay_alu instid0(VALU_DEP_3) | instskip(NEXT) | instid1(VALU_DEP_1)
	v_lshlrev_b64_e32 v[4:5], 2, v[0:1]
	v_add_co_u32 v4, s0, s4, v4
	s_wait_alu 0xf1ff
	s_delay_alu instid0(VALU_DEP_2)
	v_add_co_ci_u32_e64 v5, s0, s5, v5, s0
	global_load_b32 v4, v[4:5], off offset:3016
	ds_load_u16 v5, v7 offset:3026
	ds_load_u16 v6, v18 offset:2
	s_wait_dscnt 0x0
	v_add_f16_e32 v10, v5, v6
	v_sub_f16_e32 v5, v6, v5
	s_wait_loadcnt 0x0
	v_lshrrev_b32_e32 v11, 16, v4
	s_delay_alu instid0(VALU_DEP_1) | instskip(NEXT) | instid1(VALU_DEP_3)
	v_fma_f16 v12, -v9, v11, v8
	v_fma_f16 v13, v10, v11, -v5
	v_fma_f16 v6, v10, v11, v5
	v_fma_f16 v8, v9, v11, v8
	s_delay_alu instid0(VALU_DEP_4) | instskip(NEXT) | instid1(VALU_DEP_4)
	v_fmac_f16_e32 v12, v4, v10
	v_fmac_f16_e32 v13, v9, v4
	s_delay_alu instid0(VALU_DEP_4) | instskip(NEXT) | instid1(VALU_DEP_4)
	v_fmac_f16_e32 v6, v9, v4
	v_fma_f16 v8, -v4, v10, v8
	v_dual_mov_b32 v5, v1 :: v_dual_mov_b32 v4, v0
	s_delay_alu instid0(VALU_DEP_4)
	v_pack_b32_f16 v9, v12, v13
	ds_store_b32 v7, v9 offset:3024
.LBB0_15:
	s_wait_alu 0xfffe
	s_and_not1_saveexec_b32 s0, s1
	s_cbranch_execz .LBB0_17
; %bb.16:
	v_mov_b32_e32 v1, 0
	ds_load_b32 v4, v1 offset:1512
	s_wait_dscnt 0x0
	v_pk_mul_f16 v9, 0xc0004000, v4
	v_mov_b32_e32 v4, 0
	v_mov_b32_e32 v5, 0
	ds_store_b32 v1, v9 offset:1512
.LBB0_17:
	s_wait_alu 0xfffe
	s_or_b32 exec_lo, exec_lo, s0
	v_lshlrev_b64_e32 v[4:5], 2, v[4:5]
	s_add_nc_u64 s[0:1], s[4:5], 0xbc8
	v_add_nc_u32_e32 v19, 0x600, v18
	v_add_nc_u32_e32 v20, 0x200, v18
	;; [unrolled: 1-line block ×3, first 2 shown]
	v_and_b32_e32 v27, 1, v0
	s_wait_alu 0xfffe
	v_add_co_u32 v4, s0, s0, v4
	s_wait_alu 0xf1ff
	v_add_co_ci_u32_e64 v5, s0, s1, v5, s0
	v_and_b32_e32 v33, 1, v25
	v_add_nc_u32_e32 v17, 0xfc, v0
	v_lshl_add_u32 v26, v0, 2, v18
	s_clause 0x4
	global_load_b32 v1, v[4:5], off offset:252
	global_load_b32 v9, v[4:5], off offset:504
	;; [unrolled: 1-line block ×5, first 2 shown]
	v_perm_b32 v4, v6, v8, 0x5040100
	v_lshlrev_b32_e32 v38, 2, v33
	v_lshlrev_b32_e32 v35, 2, v27
	v_lshl_add_u32 v30, v17, 3, 0
	v_lshl_add_u32 v34, v25, 3, 0
	ds_store_b32 v18, v4
	ds_load_b32 v4, v18 offset:252
	ds_load_b32 v5, v7 offset:2772
	v_cmp_gt_u32_e64 s0, 36, v0
	s_wait_dscnt 0x1
	v_lshrrev_b32_e32 v6, 16, v4
	s_wait_dscnt 0x0
	v_lshrrev_b32_e32 v8, 16, v5
	v_add_f16_e32 v13, v4, v5
	v_sub_f16_e32 v4, v4, v5
	s_delay_alu instid0(VALU_DEP_3) | instskip(SKIP_3) | instid1(VALU_DEP_1)
	v_add_f16_e32 v5, v8, v6
	v_sub_f16_e32 v6, v6, v8
	s_wait_loadcnt 0x4
	v_lshrrev_b32_e32 v14, 16, v1
	v_fma_f16 v8, v4, v14, v13
	s_delay_alu instid0(VALU_DEP_3) | instskip(SKIP_2) | instid1(VALU_DEP_4)
	v_fma_f16 v15, v5, v14, v6
	v_fma_f16 v13, -v4, v14, v13
	v_fma_f16 v6, v5, v14, -v6
	v_fma_f16 v8, -v1, v5, v8
	s_delay_alu instid0(VALU_DEP_4) | instskip(NEXT) | instid1(VALU_DEP_4)
	v_fmac_f16_e32 v15, v4, v1
	v_fmac_f16_e32 v13, v1, v5
	s_delay_alu instid0(VALU_DEP_4) | instskip(NEXT) | instid1(VALU_DEP_3)
	v_fmac_f16_e32 v6, v4, v1
	v_pack_b32_f16 v1, v8, v15
	s_wait_loadcnt 0x3
	v_lshrrev_b32_e32 v8, 16, v9
	s_delay_alu instid0(VALU_DEP_3)
	v_pack_b32_f16 v4, v13, v6
	ds_store_b32 v18, v1 offset:252
	ds_store_b32 v7, v4 offset:2772
	ds_load_b32 v1, v18 offset:504
	ds_load_b32 v4, v7 offset:2520
	s_wait_dscnt 0x1
	v_lshrrev_b32_e32 v5, 16, v1
	s_wait_dscnt 0x0
	v_lshrrev_b32_e32 v6, 16, v4
	v_add_f16_e32 v13, v1, v4
	v_sub_f16_e32 v1, v1, v4
	s_delay_alu instid0(VALU_DEP_3) | instskip(SKIP_1) | instid1(VALU_DEP_3)
	v_add_f16_e32 v4, v6, v5
	v_sub_f16_e32 v5, v5, v6
	v_fma_f16 v6, v1, v8, v13
	v_fma_f16 v13, -v1, v8, v13
	s_delay_alu instid0(VALU_DEP_3) | instskip(SKIP_1) | instid1(VALU_DEP_4)
	v_fma_f16 v14, v4, v8, v5
	v_fma_f16 v5, v4, v8, -v5
	v_fma_f16 v6, -v9, v4, v6
	s_delay_alu instid0(VALU_DEP_4) | instskip(SKIP_4) | instid1(VALU_DEP_2)
	v_fmac_f16_e32 v13, v9, v4
	s_wait_loadcnt 0x2
	v_lshrrev_b32_e32 v8, 16, v10
	v_fmac_f16_e32 v14, v1, v9
	v_fmac_f16_e32 v5, v1, v9
	v_pack_b32_f16 v1, v6, v14
	s_delay_alu instid0(VALU_DEP_2)
	v_pack_b32_f16 v4, v13, v5
	ds_store_b32 v18, v1 offset:504
	ds_store_b32 v7, v4 offset:2520
	ds_load_b32 v1, v18 offset:756
	ds_load_b32 v4, v7 offset:2268
	s_wait_dscnt 0x1
	v_lshrrev_b32_e32 v5, 16, v1
	s_wait_dscnt 0x0
	v_lshrrev_b32_e32 v6, 16, v4
	v_add_f16_e32 v9, v1, v4
	v_sub_f16_e32 v1, v1, v4
	s_delay_alu instid0(VALU_DEP_3) | instskip(SKIP_1) | instid1(VALU_DEP_3)
	v_add_f16_e32 v4, v6, v5
	v_sub_f16_e32 v5, v5, v6
	v_fma_f16 v6, v1, v8, v9
	v_fma_f16 v9, -v1, v8, v9
	s_delay_alu instid0(VALU_DEP_3) | instskip(SKIP_1) | instid1(VALU_DEP_4)
	v_fma_f16 v13, v4, v8, v5
	v_fma_f16 v5, v4, v8, -v5
	v_fma_f16 v6, -v10, v4, v6
	s_delay_alu instid0(VALU_DEP_4) | instskip(SKIP_4) | instid1(VALU_DEP_2)
	v_fmac_f16_e32 v9, v10, v4
	s_wait_loadcnt 0x1
	v_lshrrev_b32_e32 v8, 16, v11
	v_fmac_f16_e32 v13, v1, v10
	v_fmac_f16_e32 v5, v1, v10
	v_pack_b32_f16 v1, v6, v13
	s_delay_alu instid0(VALU_DEP_2)
	v_pack_b32_f16 v4, v9, v5
	ds_store_b32 v18, v1 offset:756
	ds_store_b32 v7, v4 offset:2268
	ds_load_b32 v1, v18 offset:1008
	ds_load_b32 v4, v7 offset:2016
	s_wait_dscnt 0x1
	v_lshrrev_b32_e32 v5, 16, v1
	s_wait_dscnt 0x0
	v_lshrrev_b32_e32 v6, 16, v4
	v_add_f16_e32 v9, v1, v4
	v_sub_f16_e32 v1, v1, v4
	s_delay_alu instid0(VALU_DEP_3) | instskip(SKIP_1) | instid1(VALU_DEP_3)
	v_add_f16_e32 v4, v6, v5
	v_sub_f16_e32 v5, v5, v6
	v_fma_f16 v6, v1, v8, v9
	v_fma_f16 v9, -v1, v8, v9
	s_delay_alu instid0(VALU_DEP_3) | instskip(SKIP_1) | instid1(VALU_DEP_4)
	v_fma_f16 v10, v4, v8, v5
	v_fma_f16 v5, v4, v8, -v5
	v_fma_f16 v6, -v11, v4, v6
	s_delay_alu instid0(VALU_DEP_4) | instskip(NEXT) | instid1(VALU_DEP_4)
	v_fmac_f16_e32 v9, v11, v4
	v_fmac_f16_e32 v10, v1, v11
	s_delay_alu instid0(VALU_DEP_4) | instskip(SKIP_2) | instid1(VALU_DEP_3)
	v_fmac_f16_e32 v5, v1, v11
	s_wait_loadcnt 0x0
	v_lshrrev_b32_e32 v11, 16, v12
	v_pack_b32_f16 v1, v6, v10
	s_delay_alu instid0(VALU_DEP_3)
	v_pack_b32_f16 v4, v9, v5
	ds_store_b32 v18, v1 offset:1008
	ds_store_b32 v7, v4 offset:2016
	ds_load_b32 v6, v18 offset:1260
	ds_load_b32 v8, v7 offset:1764
	v_add_nc_u32_e32 v5, 0xbd, v0
	v_add_nc_u32_e32 v1, 63, v0
	v_add_nc_u32_e32 v4, 0x7e, v0
	s_delay_alu instid0(VALU_DEP_3) | instskip(NEXT) | instid1(VALU_DEP_3)
	v_and_b32_e32 v32, 1, v5
	v_and_b32_e32 v31, 1, v1
	v_lshl_add_u32 v28, v1, 3, 0
	v_lshl_add_u32 v29, v5, 3, 0
	s_delay_alu instid0(VALU_DEP_4) | instskip(NEXT) | instid1(VALU_DEP_4)
	v_lshlrev_b32_e32 v37, 2, v32
	v_lshlrev_b32_e32 v36, 2, v31
	s_wait_dscnt 0x1
	v_lshrrev_b32_e32 v9, 16, v6
	s_wait_dscnt 0x0
	v_lshrrev_b32_e32 v10, 16, v8
	v_add_f16_e32 v13, v6, v8
	v_sub_f16_e32 v6, v6, v8
	s_delay_alu instid0(VALU_DEP_3) | instskip(SKIP_1) | instid1(VALU_DEP_3)
	v_add_f16_e32 v8, v10, v9
	v_sub_f16_e32 v9, v9, v10
	v_fma_f16 v10, v6, v11, v13
	v_fma_f16 v13, -v6, v11, v13
	s_delay_alu instid0(VALU_DEP_3) | instskip(SKIP_1) | instid1(VALU_DEP_4)
	v_fma_f16 v14, v8, v11, v9
	v_fma_f16 v9, v8, v11, -v9
	v_fma_f16 v11, -v12, v8, v10
	s_delay_alu instid0(VALU_DEP_4) | instskip(SKIP_4) | instid1(VALU_DEP_3)
	v_fmac_f16_e32 v13, v12, v8
	v_add_nc_u32_e32 v10, 0x400, v18
	v_fmac_f16_e32 v14, v6, v12
	v_fmac_f16_e32 v9, v6, v12
	v_add_nc_u32_e32 v6, 0x800, v18
	v_pack_b32_f16 v8, v11, v14
	s_delay_alu instid0(VALU_DEP_3)
	v_pack_b32_f16 v9, v13, v9
	ds_store_b32 v18, v8 offset:1260
	ds_store_b32 v7, v9 offset:1764
	global_wb scope:SCOPE_SE
	s_wait_dscnt 0x0
	s_barrier_signal -1
	s_barrier_wait -1
	global_inv scope:SCOPE_SE
	global_wb scope:SCOPE_SE
	s_barrier_signal -1
	s_barrier_wait -1
	global_inv scope:SCOPE_SE
	ds_load_2addr_b32 v[7:8], v18 offset1:63
	ds_load_2addr_b32 v[11:12], v10 offset0:122 offset1:185
	ds_load_2addr_b32 v[13:14], v18 offset0:126 offset1:189
	;; [unrolled: 1-line block ×5, first 2 shown]
	v_lshl_add_u32 v9, v4, 3, 0
	global_wb scope:SCOPE_SE
	s_wait_dscnt 0x0
	s_barrier_signal -1
	s_barrier_wait -1
	global_inv scope:SCOPE_SE
	v_pk_add_f16 v11, v7, v11 neg_lo:[0,1] neg_hi:[0,1]
	v_pk_add_f16 v12, v8, v12 neg_lo:[0,1] neg_hi:[0,1]
	;; [unrolled: 1-line block ×6, first 2 shown]
	v_pk_fma_f16 v7, v7, 2.0, v11 op_sel_hi:[1,0,1] neg_lo:[0,0,1] neg_hi:[0,0,1]
	v_pk_fma_f16 v8, v8, 2.0, v12 op_sel_hi:[1,0,1] neg_lo:[0,0,1] neg_hi:[0,0,1]
	;; [unrolled: 1-line block ×6, first 2 shown]
	ds_store_2addr_b32 v26, v7, v11 offset1:1
	ds_store_2addr_b32 v28, v8, v12 offset1:1
	;; [unrolled: 1-line block ×6, first 2 shown]
	global_wb scope:SCOPE_SE
	s_wait_dscnt 0x0
	s_barrier_signal -1
	s_barrier_wait -1
	global_inv scope:SCOPE_SE
	s_clause 0x3
	global_load_b32 v9, v38, s[4:5]
	global_load_b32 v26, v35, s[4:5]
	;; [unrolled: 1-line block ×4, first 2 shown]
	v_lshlrev_b32_e32 v7, 1, v0
	v_lshlrev_b32_e32 v8, 1, v1
	;; [unrolled: 1-line block ×5, first 2 shown]
	v_and_or_b32 v7, 0x7c, v7, v27
	v_and_or_b32 v16, 0xfc, v8, v31
	;; [unrolled: 1-line block ×4, first 2 shown]
	ds_load_2addr_b32 v[11:12], v19 offset0:120 offset1:183
	v_lshl_add_u32 v36, v7, 2, 0
	ds_load_2addr_b32 v[7:8], v6 offset0:118 offset1:181
	v_and_or_b32 v23, 0x3fc, v13, v27
	ds_load_2addr_b32 v[13:14], v10 offset0:122 offset1:185
	v_lshlrev_b32_e32 v15, 1, v25
	v_lshl_add_u32 v32, v16, 2, 0
	v_lshl_add_u32 v37, v22, 2, 0
	;; [unrolled: 1-line block ×3, first 2 shown]
	v_and_b32_e32 v30, 3, v0
	v_and_or_b32 v15, 0x2fc, v15, v33
	v_lshl_add_u32 v33, v21, 2, 0
	v_and_b32_e32 v25, 3, v1
	v_and_b32_e32 v34, 3, v4
	v_lshlrev_b32_e32 v17, 3, v30
	v_lshl_add_u32 v39, v15, 2, 0
	ds_load_2addr_b32 v[15:16], v18 offset1:63
	ds_load_2addr_b32 v[21:22], v18 offset0:126 offset1:189
	ds_load_2addr_b32 v[23:24], v20 offset0:124 offset1:187
	v_and_b32_e32 v35, 3, v5
	v_lshlrev_b32_e32 v27, 3, v25
	v_lshlrev_b32_e32 v31, 3, v34
	global_wb scope:SCOPE_SE
	s_wait_loadcnt_dscnt 0x0
	s_barrier_signal -1
	s_barrier_wait -1
	global_inv scope:SCOPE_SE
	v_pk_mul_f16 v40, v9, v8 op_sel:[0,1]
	v_pk_mul_f16 v41, v26, v7 op_sel:[0,1]
	;; [unrolled: 1-line block ×6, first 2 shown]
	v_pk_fma_f16 v46, v9, v8, v40 op_sel:[0,0,1] op_sel_hi:[1,1,0] neg_lo:[0,0,1] neg_hi:[0,0,1]
	v_pk_fma_f16 v8, v9, v8, v40 op_sel:[0,0,1] op_sel_hi:[1,0,0]
	v_pk_fma_f16 v9, v26, v7, v41 op_sel:[0,0,1] op_sel_hi:[1,1,0] neg_lo:[0,0,1] neg_hi:[0,0,1]
	v_pk_fma_f16 v7, v26, v7, v41 op_sel:[0,0,1] op_sel_hi:[1,0,0]
	;; [unrolled: 2-line block ×6, first 2 shown]
	v_bfi_b32 v7, 0xffff, v9, v7
	v_bfi_b32 v9, 0xffff, v40, v12
	;; [unrolled: 1-line block ×6, first 2 shown]
	v_pk_add_f16 v9, v22, v9 neg_lo:[0,1] neg_hi:[0,1]
	v_pk_add_f16 v12, v15, v12 neg_lo:[0,1] neg_hi:[0,1]
	;; [unrolled: 1-line block ×6, first 2 shown]
	v_pk_fma_f16 v15, v15, 2.0, v12 op_sel_hi:[1,0,1] neg_lo:[0,0,1] neg_hi:[0,0,1]
	v_pk_fma_f16 v16, v16, 2.0, v13 op_sel_hi:[1,0,1] neg_lo:[0,0,1] neg_hi:[0,0,1]
	;; [unrolled: 1-line block ×6, first 2 shown]
	ds_store_2addr_b32 v36, v15, v12 offset1:2
	ds_store_2addr_b32 v32, v16, v13 offset1:2
	;; [unrolled: 1-line block ×6, first 2 shown]
	global_wb scope:SCOPE_SE
	s_wait_dscnt 0x0
	s_barrier_signal -1
	s_barrier_wait -1
	global_inv scope:SCOPE_SE
	global_load_b64 v[7:8], v17, s[4:5] offset:8
	v_lshlrev_b32_e32 v9, 3, v35
	s_clause 0x2
	global_load_b64 v[11:12], v27, s[4:5] offset:8
	global_load_b64 v[13:14], v31, s[4:5] offset:8
	;; [unrolled: 1-line block ×3, first 2 shown]
	v_and_b32_e32 v17, 0xff, v0
	v_lshrrev_b32_e32 v21, 2, v1
	v_lshrrev_b32_e32 v22, 2, v4
	;; [unrolled: 1-line block ×3, first 2 shown]
	v_and_b32_e32 v33, 0xff, v1
	v_mul_lo_u16 v17, 0xab, v17
	v_and_b32_e32 v36, 0xff, v4
	v_and_b32_e32 v37, 0xff, v5
	v_mul_u32_u24_e32 v21, 12, v21
	v_mul_u32_u24_e32 v22, 12, v22
	;; [unrolled: 1-line block ×3, first 2 shown]
	v_lshrrev_b16 v17, 11, v17
	v_mul_lo_u16 v24, 0xab, v33
	v_mul_lo_u16 v26, 0xab, v36
	;; [unrolled: 1-line block ×3, first 2 shown]
	v_lshrrev_b32_e32 v9, 2, v0
	v_or_b32_e32 v21, v21, v25
	v_or_b32_e32 v22, v22, v34
	;; [unrolled: 1-line block ×3, first 2 shown]
	v_mul_lo_u16 v23, v17, 12
	v_lshrrev_b16 v35, 11, v24
	v_lshrrev_b16 v38, 11, v26
	;; [unrolled: 1-line block ×3, first 2 shown]
	v_mul_u32_u24_e32 v9, 12, v9
	v_lshl_add_u32 v40, v21, 2, 0
	v_sub_nc_u16 v21, v0, v23
	v_mul_lo_u16 v23, v35, 12
	v_mul_lo_u16 v27, v38, 12
	;; [unrolled: 1-line block ×3, first 2 shown]
	v_or_b32_e32 v9, v9, v30
	v_lshl_add_u32 v41, v22, 2, 0
	v_and_b32_e32 v42, 0xff, v21
	ds_load_2addr_b32 v[21:22], v18 offset1:63
	v_sub_nc_u16 v43, v1, v23
	ds_load_2addr_b32 v[23:24], v18 offset0:126 offset1:189
	ds_load_2addr_b32 v[25:26], v6 offset0:118 offset1:181
	v_sub_nc_u16 v44, v4, v27
	ds_load_2addr_b32 v[27:28], v10 offset0:122 offset1:185
	v_sub_nc_u16 v45, v5, v29
	ds_load_2addr_b32 v[29:30], v20 offset0:124 offset1:187
	ds_load_2addr_b32 v[31:32], v19 offset0:120 offset1:183
	v_and_b32_e32 v43, 0xff, v43
	v_lshl_add_u32 v9, v9, 2, 0
	v_and_b32_e32 v44, 0xff, v44
	v_lshlrev_b32_e32 v46, 3, v42
	v_and_b32_e32 v45, 0xff, v45
	v_lshlrev_b32_e32 v47, 3, v43
	v_lshl_add_u32 v34, v34, 2, 0
	v_lshlrev_b32_e32 v48, 3, v44
	global_wb scope:SCOPE_SE
	s_wait_loadcnt_dscnt 0x0
	s_barrier_signal -1
	s_barrier_wait -1
	global_inv scope:SCOPE_SE
	v_and_b32_e32 v17, 0xffff, v17
	v_lshrrev_b32_e32 v49, 16, v21
	v_lshrrev_b32_e32 v50, 16, v22
	;; [unrolled: 1-line block ×12, first 2 shown]
	v_mul_u32_u24_e32 v17, 0x90, v17
	v_lshrrev_b32_e32 v61, 16, v7
	v_lshrrev_b32_e32 v62, 16, v8
	;; [unrolled: 1-line block ×8, first 2 shown]
	v_mul_f16_e32 v69, v61, v56
	v_mul_f16_e32 v61, v61, v29
	;; [unrolled: 1-line block ×16, first 2 shown]
	v_fma_f16 v29, v7, v29, -v69
	v_fmac_f16_e32 v61, v7, v56
	v_fma_f16 v7, v8, v31, -v70
	v_fmac_f16_e32 v62, v8, v57
	;; [unrolled: 2-line block ×8, first 2 shown]
	v_add_f16_e32 v16, v21, v29
	v_add_f16_e32 v25, v29, v7
	;; [unrolled: 1-line block ×7, first 2 shown]
	v_sub_f16_e32 v26, v61, v62
	v_add_f16_e32 v27, v49, v61
	v_sub_f16_e32 v29, v29, v7
	v_add_f16_e32 v30, v22, v8
	;; [unrolled: 2-line block ×4, first 2 shown]
	v_add_f16_e32 v60, v24, v14
	v_add_f16_e32 v61, v14, v15
	v_sub_f16_e32 v63, v67, v68
	v_add_f16_e32 v65, v53, v67
	v_add_f16_e32 v67, v67, v68
	;; [unrolled: 1-line block ×3, first 2 shown]
	v_fma_f16 v16, -0.5, v25, v21
	v_fmac_f16_e32 v49, -0.5, v28
	v_sub_f16_e32 v8, v8, v11
	v_fmac_f16_e32 v22, -0.5, v31
	v_fmac_f16_e32 v50, -0.5, v54
	v_add_f16_e32 v55, v23, v12
	v_sub_f16_e32 v12, v12, v13
	v_fma_f16 v23, -0.5, v56, v23
	v_fmac_f16_e32 v51, -0.5, v59
	v_sub_f16_e32 v14, v14, v15
	v_add_f16_e32 v21, v27, v62
	v_add_f16_e32 v11, v30, v11
	;; [unrolled: 1-line block ×3, first 2 shown]
	v_fmac_f16_e32 v24, -0.5, v61
	v_add_f16_e32 v28, v65, v68
	v_fmac_f16_e32 v53, -0.5, v67
	v_fmamk_f16 v30, v26, 0x3aee, v16
	v_fmac_f16_e32 v16, 0xbaee, v26
	v_fmamk_f16 v26, v29, 0xbaee, v49
	v_fmac_f16_e32 v49, 0x3aee, v29
	v_add_f16_e32 v25, v52, v64
	v_fmamk_f16 v29, v32, 0x3aee, v22
	v_fmamk_f16 v31, v8, 0xbaee, v50
	v_fmac_f16_e32 v22, 0xbaee, v32
	v_fmac_f16_e32 v50, 0x3aee, v8
	v_add_f16_e32 v13, v55, v13
	v_add_f16_e32 v27, v58, v66
	v_fmamk_f16 v8, v57, 0x3aee, v23
	v_fmamk_f16 v32, v12, 0xbaee, v51
	v_fmac_f16_e32 v23, 0xbaee, v57
	v_fmac_f16_e32 v51, 0x3aee, v12
	v_fmamk_f16 v12, v63, 0x3aee, v24
	v_fmac_f16_e32 v24, 0xbaee, v63
	v_fmamk_f16 v52, v14, 0xbaee, v53
	v_fmac_f16_e32 v53, 0x3aee, v14
	v_pack_b32_f16 v7, v7, v21
	v_pack_b32_f16 v14, v15, v28
	;; [unrolled: 1-line block ×12, first 2 shown]
	ds_store_2addr_b32 v9, v7, v15 offset1:4
	ds_store_b32 v9, v16 offset:32
	ds_store_2addr_b32 v40, v11, v21 offset1:4
	ds_store_b32 v40, v22 offset:32
	;; [unrolled: 2-line block ×4, first 2 shown]
	v_mov_b32_e32 v22, 0
	global_wb scope:SCOPE_SE
	s_wait_dscnt 0x0
	s_barrier_signal -1
	s_barrier_wait -1
	global_inv scope:SCOPE_SE
	global_load_b64 v[7:8], v46, s[4:5] offset:40
	v_lshlrev_b32_e32 v9, 3, v45
	s_clause 0x2
	global_load_b64 v[11:12], v47, s[4:5] offset:40
	global_load_b64 v[13:14], v48, s[4:5] offset:40
	;; [unrolled: 1-line block ×3, first 2 shown]
	v_mul_lo_u16 v23, v33, 57
	v_mul_lo_u16 v24, v36, 57
	;; [unrolled: 1-line block ×3, first 2 shown]
	v_subrev_nc_u32_e32 v9, 36, v0
	s_delay_alu instid0(VALU_DEP_4) | instskip(NEXT) | instid1(VALU_DEP_4)
	v_lshrrev_b16 v33, 11, v23
	v_lshrrev_b16 v34, 11, v24
	s_delay_alu instid0(VALU_DEP_4)
	v_lshrrev_b16 v36, 11, v25
	v_and_b32_e32 v23, 0xffff, v35
	v_and_b32_e32 v24, 0xffff, v38
	v_mul_lo_u16 v26, v33, 36
	v_mul_lo_u16 v27, v34, 36
	;; [unrolled: 1-line block ×3, first 2 shown]
	v_and_b32_e32 v25, 0xffff, v39
	v_mul_u32_u24_e32 v35, 0x90, v23
	v_mul_u32_u24_e32 v37, 0x90, v24
	v_sub_nc_u16 v23, v1, v26
	v_sub_nc_u16 v4, v4, v27
	;; [unrolled: 1-line block ×3, first 2 shown]
	v_lshlrev_b32_e32 v27, 2, v42
	v_mul_u32_u24_e32 v38, 0x90, v25
	v_and_b32_e32 v39, 0xff, v23
	v_and_b32_e32 v40, 0xff, v4
	ds_load_2addr_b32 v[4:5], v18 offset1:63
	v_and_b32_e32 v41, 0xff, v24
	ds_load_2addr_b32 v[23:24], v18 offset0:126 offset1:189
	ds_load_2addr_b32 v[25:26], v6 offset0:118 offset1:181
	v_add3_u32 v17, 0, v17, v27
	ds_load_2addr_b32 v[27:28], v10 offset0:122 offset1:185
	ds_load_2addr_b32 v[29:30], v20 offset0:124 offset1:187
	;; [unrolled: 1-line block ×3, first 2 shown]
	v_lshlrev_b32_e32 v42, 2, v43
	v_lshlrev_b32_e32 v43, 2, v44
	v_lshlrev_b32_e32 v44, 2, v45
	s_wait_alu 0xf1ff
	v_cndmask_b32_e64 v9, v9, v0, s0
	v_lshlrev_b32_e32 v45, 3, v39
	v_add3_u32 v35, 0, v35, v42
	v_add3_u32 v37, 0, v37, v43
	v_add3_u32 v38, 0, v38, v44
	v_lshlrev_b32_e32 v21, 1, v9
	v_lshlrev_b32_e32 v46, 3, v40
	global_wb scope:SCOPE_SE
	s_wait_loadcnt_dscnt 0x0
	s_barrier_signal -1
	s_barrier_wait -1
	v_lshlrev_b64_e32 v[21:22], 2, v[21:22]
	v_lshrrev_b32_e32 v42, 16, v4
	v_lshrrev_b32_e32 v43, 16, v5
	;; [unrolled: 1-line block ×12, first 2 shown]
	v_add_co_u32 v21, s0, s4, v21
	s_wait_alu 0xf1ff
	v_add_co_ci_u32_e64 v22, s0, s5, v22, s0
	global_inv scope:SCOPE_SE
	v_cmp_lt_u32_e64 s0, 35, v0
	v_lshlrev_b32_e32 v9, 2, v9
	v_lshrrev_b32_e32 v56, 16, v7
	v_lshrrev_b32_e32 v57, 16, v8
	;; [unrolled: 1-line block ×8, first 2 shown]
	v_mul_f16_e32 v64, v56, v51
	v_mul_f16_e32 v56, v56, v29
	;; [unrolled: 1-line block ×16, first 2 shown]
	v_fma_f16 v29, v7, v29, -v64
	v_fmac_f16_e32 v56, v7, v51
	v_fma_f16 v7, v8, v31, -v65
	v_fmac_f16_e32 v57, v8, v52
	;; [unrolled: 2-line block ×8, first 2 shown]
	v_add_f16_e32 v25, v29, v7
	v_add_f16_e32 v28, v56, v57
	v_add_f16_e32 v31, v8, v11
	v_add_f16_e32 v49, v58, v59
	v_add_f16_e32 v51, v12, v13
	v_add_f16_e32 v54, v60, v61
	v_add_f16_e32 v16, v4, v29
	v_sub_f16_e32 v26, v56, v57
	v_add_f16_e32 v27, v42, v56
	v_sub_f16_e32 v29, v29, v7
	v_add_f16_e32 v30, v5, v8
	;; [unrolled: 2-line block ×4, first 2 shown]
	v_add_f16_e32 v55, v24, v14
	v_add_f16_e32 v56, v14, v15
	v_sub_f16_e32 v58, v62, v63
	v_add_f16_e32 v60, v48, v62
	v_add_f16_e32 v62, v62, v63
	v_fma_f16 v4, -0.5, v25, v4
	v_fmac_f16_e32 v42, -0.5, v28
	v_sub_f16_e32 v8, v8, v11
	v_fmac_f16_e32 v5, -0.5, v31
	v_fmac_f16_e32 v43, -0.5, v49
	v_add_f16_e32 v50, v23, v12
	v_sub_f16_e32 v12, v12, v13
	v_fma_f16 v23, -0.5, v51, v23
	v_fmac_f16_e32 v44, -0.5, v54
	v_sub_f16_e32 v14, v14, v15
	v_add_f16_e32 v7, v16, v7
	v_add_f16_e32 v16, v27, v57
	;; [unrolled: 1-line block ×4, first 2 shown]
	v_fmac_f16_e32 v24, -0.5, v56
	v_add_f16_e32 v28, v60, v63
	v_fmac_f16_e32 v48, -0.5, v62
	v_fmamk_f16 v30, v26, 0x3aee, v4
	v_fmac_f16_e32 v4, 0xbaee, v26
	v_fmamk_f16 v26, v29, 0xbaee, v42
	v_fmac_f16_e32 v42, 0x3aee, v29
	v_add_f16_e32 v25, v47, v59
	v_fmamk_f16 v29, v32, 0x3aee, v5
	v_fmamk_f16 v31, v8, 0xbaee, v43
	v_fmac_f16_e32 v5, 0xbaee, v32
	v_fmac_f16_e32 v43, 0x3aee, v8
	v_add_f16_e32 v13, v50, v13
	v_add_f16_e32 v27, v53, v61
	v_fmamk_f16 v8, v52, 0x3aee, v23
	v_fmamk_f16 v32, v12, 0xbaee, v44
	v_fmac_f16_e32 v23, 0xbaee, v52
	v_fmac_f16_e32 v44, 0x3aee, v12
	v_fmamk_f16 v12, v58, 0x3aee, v24
	v_fmac_f16_e32 v24, 0xbaee, v58
	v_fmamk_f16 v47, v14, 0xbaee, v48
	v_fmac_f16_e32 v48, 0x3aee, v14
	v_pack_b32_f16 v7, v7, v16
	v_pack_b32_f16 v14, v15, v28
	v_pack_b32_f16 v15, v30, v26
	v_pack_b32_f16 v4, v4, v42
	v_pack_b32_f16 v11, v11, v25
	v_pack_b32_f16 v16, v29, v31
	v_pack_b32_f16 v5, v5, v43
	v_pack_b32_f16 v13, v13, v27
	v_pack_b32_f16 v8, v8, v32
	v_pack_b32_f16 v23, v23, v44
	v_pack_b32_f16 v12, v12, v47
	v_pack_b32_f16 v24, v24, v48
	ds_store_2addr_b32 v17, v7, v15 offset1:12
	ds_store_b32 v17, v4 offset:96
	ds_store_2addr_b32 v35, v11, v16 offset1:12
	ds_store_b32 v35, v5 offset:96
	;; [unrolled: 2-line block ×4, first 2 shown]
	global_wb scope:SCOPE_SE
	s_wait_dscnt 0x0
	s_barrier_signal -1
	s_barrier_wait -1
	global_inv scope:SCOPE_SE
	global_load_b64 v[7:8], v[21:22], off offset:136
	v_lshlrev_b32_e32 v4, 3, v41
	s_clause 0x2
	global_load_b64 v[11:12], v45, s[4:5] offset:136
	global_load_b64 v[13:14], v46, s[4:5] offset:136
	;; [unrolled: 1-line block ×3, first 2 shown]
	v_and_b32_e32 v4, 0xffff, v33
	v_and_b32_e32 v5, 0xffff, v34
	ds_load_2addr_b32 v[24:25], v18 offset1:63
	v_and_b32_e32 v21, 0xffff, v36
	v_lshlrev_b32_e32 v35, 2, v41
	v_mul_u32_u24_e32 v22, 0x1b0, v4
	v_mul_u32_u24_e32 v23, 0x1b0, v5
	ds_load_2addr_b32 v[4:5], v18 offset0:126 offset1:189
	ds_load_2addr_b32 v[26:27], v6 offset0:118 offset1:181
	;; [unrolled: 1-line block ×5, first 2 shown]
	v_mul_u32_u24_e32 v6, 0x1b0, v21
	s_wait_alu 0xf1ff
	v_cndmask_b32_e64 v17, 0, 0x1b0, s0
	v_lshlrev_b32_e32 v21, 2, v39
	v_lshlrev_b32_e32 v34, 2, v40
	global_wb scope:SCOPE_SE
	s_wait_loadcnt_dscnt 0x0
	v_add3_u32 v35, 0, v6, v35
	v_add3_u32 v17, 0, v17, v9
	;; [unrolled: 1-line block ×4, first 2 shown]
	s_barrier_signal -1
	s_barrier_wait -1
	global_inv scope:SCOPE_SE
	v_lshrrev_b32_e32 v37, 16, v24
	v_lshrrev_b32_e32 v38, 16, v25
	v_cmp_gt_u32_e64 s0, 45, v0
	v_lshrrev_b32_e32 v22, 16, v4
	v_lshrrev_b32_e32 v6, 16, v26
	;; [unrolled: 1-line block ×18, first 2 shown]
	v_mul_f16_e32 v52, v44, v39
	v_mul_f16_e32 v44, v44, v30
	;; [unrolled: 1-line block ×16, first 2 shown]
	v_fma_f16 v30, v7, v30, -v52
	v_fmac_f16_e32 v44, v7, v39
	v_fma_f16 v7, v8, v32, -v53
	v_fmac_f16_e32 v45, v8, v40
	;; [unrolled: 2-line block ×8, first 2 shown]
	v_add_f16_e32 v15, v30, v7
	v_add_f16_e32 v26, v44, v45
	;; [unrolled: 1-line block ×7, first 2 shown]
	v_sub_f16_e32 v16, v44, v45
	v_add_f16_e32 v23, v37, v44
	v_sub_f16_e32 v27, v30, v7
	v_sub_f16_e32 v30, v46, v47
	v_add_f16_e32 v31, v38, v46
	v_sub_f16_e32 v40, v48, v49
	v_add_f16_e32 v41, v22, v48
	v_add_f16_e32 v44, v6, v9
	v_sub_f16_e32 v46, v50, v51
	v_add_f16_e32 v48, v21, v50
	v_add_f16_e32 v50, v50, v51
	v_fma_f16 v15, -0.5, v15, v24
	v_fmac_f16_e32 v37, -0.5, v26
	v_add_f16_e32 v28, v25, v8
	v_sub_f16_e32 v33, v8, v11
	v_fmac_f16_e32 v25, -0.5, v29
	v_fmac_f16_e32 v38, -0.5, v32
	v_add_f16_e32 v8, v4, v12
	v_sub_f16_e32 v12, v12, v13
	v_add_f16_e32 v43, v5, v6
	v_add_f16_e32 v14, v14, v7
	v_fma_f16 v7, -0.5, v39, v4
	v_fmac_f16_e32 v22, -0.5, v42
	v_sub_f16_e32 v52, v6, v9
	v_add_f16_e32 v45, v23, v45
	v_fmac_f16_e32 v5, -0.5, v44
	v_fmac_f16_e32 v21, -0.5, v50
	v_fmamk_f16 v29, v16, 0x3aee, v15
	v_fmac_f16_e32 v15, 0xbaee, v16
	v_fmamk_f16 v16, v27, 0xbaee, v37
	v_fmac_f16_e32 v37, 0x3aee, v27
	v_add_f16_e32 v11, v28, v11
	v_add_f16_e32 v26, v31, v47
	v_fmamk_f16 v27, v30, 0x3aee, v25
	v_fmac_f16_e32 v25, 0xbaee, v30
	v_fmamk_f16 v30, v33, 0xbaee, v38
	v_fmac_f16_e32 v38, 0x3aee, v33
	v_add_f16_e32 v13, v8, v13
	v_add_f16_e32 v28, v41, v49
	;; [unrolled: 1-line block ×4, first 2 shown]
	v_fmamk_f16 v6, v40, 0x3aee, v7
	v_fmac_f16_e32 v7, 0xbaee, v40
	v_fmamk_f16 v4, v12, 0xbaee, v22
	v_fmac_f16_e32 v22, 0x3aee, v12
	;; [unrolled: 2-line block ×4, first 2 shown]
	v_pack_b32_f16 v12, v14, v45
	v_pack_b32_f16 v16, v29, v16
	;; [unrolled: 1-line block ×12, first 2 shown]
	ds_store_2addr_b32 v17, v12, v16 offset1:36
	ds_store_b32 v17, v15 offset:288
	ds_store_2addr_b32 v36, v11, v26 offset1:36
	ds_store_b32 v36, v25 offset:288
	;; [unrolled: 2-line block ×4, first 2 shown]
	global_wb scope:SCOPE_SE
	s_wait_dscnt 0x0
	s_barrier_signal -1
	s_barrier_wait -1
	global_inv scope:SCOPE_SE
	ds_load_2addr_b32 v[12:13], v18 offset1:108
	ds_load_2addr_b32 v[16:17], v20 offset0:88 offset1:196
	ds_load_2addr_b32 v[14:15], v19 offset0:48 offset1:156
	ds_load_b32 v28, v18 offset:2592
                                        ; implicit-def: $vgpr27
                                        ; implicit-def: $vgpr26
                                        ; implicit-def: $vgpr25
                                        ; implicit-def: $vgpr11
	s_and_saveexec_b32 s1, s0
	s_cbranch_execz .LBB0_19
; %bb.18:
	ds_load_2addr_b32 v[6:7], v18 offset0:63 offset1:171
	ds_load_2addr_b32 v[8:9], v10 offset0:23 offset1:131
	;; [unrolled: 1-line block ×3, first 2 shown]
	ds_load_b32 v26, v18 offset:2844
	ds_load_u16 v23, v18 offset:1118
	s_wait_dscnt 0x4
	v_lshrrev_b32_e32 v4, 16, v6
	s_wait_dscnt 0x3
	v_lshrrev_b32_e32 v24, 16, v9
	;; [unrolled: 2-line block ×3, first 2 shown]
	v_lshrrev_b32_e32 v25, 16, v11
	s_wait_dscnt 0x1
	v_lshrrev_b32_e32 v27, 16, v26
	v_lshrrev_b32_e32 v22, 16, v7
	v_mov_b32_e32 v5, v10
.LBB0_19:
	s_wait_alu 0xfffe
	s_or_b32 exec_lo, exec_lo, s1
	v_mul_u32_u24_e32 v10, 6, v0
	s_wait_dscnt 0x1
	v_lshrrev_b32_e32 v35, 16, v15
	v_lshrrev_b32_e32 v38, 16, v16
	;; [unrolled: 1-line block ×4, first 2 shown]
	v_lshlrev_b32_e32 v10, 2, v10
	v_lshrrev_b32_e32 v37, 16, v17
	v_lshrrev_b32_e32 v40, 16, v12
	s_clause 0x1
	global_load_b128 v[29:32], v10, s[4:5] offset:424
	global_load_b64 v[33:34], v10, s[4:5] offset:440
	s_wait_dscnt 0x0
	v_lshrrev_b32_e32 v10, 16, v28
	global_wb scope:SCOPE_SE
	s_wait_loadcnt 0x0
	s_barrier_signal -1
	s_barrier_wait -1
	global_inv scope:SCOPE_SE
	v_lshrrev_b32_e32 v41, 16, v29
	v_lshrrev_b32_e32 v42, 16, v30
	;; [unrolled: 1-line block ×6, first 2 shown]
	v_mul_f16_e32 v47, v41, v39
	v_mul_f16_e32 v41, v41, v13
	;; [unrolled: 1-line block ×12, first 2 shown]
	v_fma_f16 v13, v29, v13, -v47
	v_fmac_f16_e32 v41, v29, v39
	v_fma_f16 v16, v30, v16, -v48
	v_fmac_f16_e32 v42, v30, v38
	;; [unrolled: 2-line block ×6, first 2 shown]
	v_add_f16_e32 v15, v13, v28
	v_add_f16_e32 v29, v41, v46
	;; [unrolled: 1-line block ×4, first 2 shown]
	v_sub_f16_e32 v13, v13, v28
	v_sub_f16_e32 v28, v41, v46
	;; [unrolled: 1-line block ×4, first 2 shown]
	v_add_f16_e32 v32, v17, v14
	v_add_f16_e32 v33, v43, v44
	v_sub_f16_e32 v14, v14, v17
	v_sub_f16_e32 v17, v44, v43
	v_add_f16_e32 v34, v30, v15
	v_add_f16_e32 v35, v31, v29
	v_sub_f16_e32 v36, v30, v15
	v_sub_f16_e32 v37, v31, v29
	;; [unrolled: 1-line block ×6, first 2 shown]
	v_add_f16_e32 v38, v14, v10
	v_add_f16_e32 v39, v17, v16
	v_sub_f16_e32 v41, v14, v10
	v_sub_f16_e32 v42, v17, v16
	;; [unrolled: 1-line block ×4, first 2 shown]
	v_add_f16_e32 v32, v32, v34
	v_add_f16_e32 v33, v33, v35
	v_sub_f16_e32 v14, v13, v14
	v_sub_f16_e32 v17, v28, v17
	v_add_f16_e32 v13, v38, v13
	v_add_f16_e32 v28, v39, v28
	v_mul_f16_e32 v15, 0x3a52, v15
	v_mul_f16_e32 v29, 0x3a52, v29
	v_mul_f16_e32 v34, 0x2b26, v30
	v_mul_f16_e32 v35, 0x2b26, v31
	v_mul_f16_e32 v38, 0xb846, v41
	v_mul_f16_e32 v39, 0xb846, v42
	v_mul_f16_e32 v41, 0x3b00, v10
	v_mul_f16_e32 v42, 0x3b00, v16
	v_add_f16_e32 v12, v32, v12
	v_add_f16_e32 v40, v33, v40
	v_fmamk_f16 v30, v30, 0x2b26, v15
	v_fmamk_f16 v31, v31, 0x2b26, v29
	v_fma_f16 v34, v36, 0x39e0, -v34
	v_fma_f16 v35, v37, 0x39e0, -v35
	;; [unrolled: 1-line block ×4, first 2 shown]
	v_fmamk_f16 v36, v14, 0x3574, v38
	v_fmamk_f16 v37, v17, 0x3574, v39
	v_fma_f16 v10, v10, 0x3b00, -v38
	v_fma_f16 v16, v16, 0x3b00, -v39
	;; [unrolled: 1-line block ×4, first 2 shown]
	v_fmamk_f16 v32, v32, 0xbcab, v12
	v_fmamk_f16 v33, v33, 0xbcab, v40
	v_fmac_f16_e32 v36, 0x370e, v13
	v_fmac_f16_e32 v37, 0x370e, v28
	;; [unrolled: 1-line block ×6, first 2 shown]
	v_add_f16_e32 v13, v30, v32
	v_add_f16_e32 v28, v31, v33
	;; [unrolled: 1-line block ×7, first 2 shown]
	v_sub_f16_e32 v33, v28, v36
	v_add_f16_e32 v34, v17, v15
	v_sub_f16_e32 v35, v29, v14
	v_sub_f16_e32 v38, v30, v16
	v_add_f16_e32 v39, v10, v31
	v_add_f16_e32 v16, v16, v30
	v_sub_f16_e32 v10, v31, v10
	v_sub_f16_e32 v15, v15, v17
	v_add_f16_e32 v14, v14, v29
	v_sub_f16_e32 v13, v13, v37
	v_add_f16_e32 v17, v36, v28
	v_pack_b32_f16 v12, v12, v40
	v_pack_b32_f16 v28, v32, v33
	;; [unrolled: 1-line block ×7, first 2 shown]
	ds_store_2addr_b32 v18, v12, v28 offset1:108
	ds_store_2addr_b32 v20, v29, v30 offset0:88 offset1:196
	ds_store_2addr_b32 v19, v10, v14 offset0:48 offset1:156
	ds_store_b32 v18, v13 offset:2592
	s_and_saveexec_b32 s1, s0
	s_cbranch_execz .LBB0_21
; %bb.20:
	v_subrev_nc_u32_e32 v10, 45, v0
	v_mov_b32_e32 v13, 0
	s_delay_alu instid0(VALU_DEP_2) | instskip(SKIP_1) | instid1(VALU_DEP_2)
	v_cndmask_b32_e64 v1, v10, v1, s0
	v_add_nc_u32_e32 v10, 0x600, v18
	v_mul_i32_i24_e32 v12, 6, v1
	v_add_nc_u32_e32 v1, 0x400, v18
	s_delay_alu instid0(VALU_DEP_2) | instskip(NEXT) | instid1(VALU_DEP_1)
	v_lshlrev_b64_e32 v[12:13], 2, v[12:13]
	v_add_co_u32 v16, s0, s4, v12
	s_wait_alu 0xf1ff
	s_delay_alu instid0(VALU_DEP_2)
	v_add_co_ci_u32_e64 v17, s0, s5, v13, s0
	s_clause 0x1
	global_load_b128 v[12:15], v[16:17], off offset:424
	global_load_b64 v[16:17], v[16:17], off offset:440
	s_wait_loadcnt 0x1
	v_lshrrev_b32_e32 v19, 16, v12
	v_lshrrev_b32_e32 v20, 16, v13
	s_wait_loadcnt 0x0
	v_lshrrev_b32_e32 v28, 16, v17
	v_lshrrev_b32_e32 v31, 16, v16
	v_lshrrev_b32_e32 v29, 16, v15
	v_lshrrev_b32_e32 v30, 16, v14
	v_mul_f16_e32 v32, v22, v19
	v_mul_f16_e32 v33, v27, v28
	;; [unrolled: 1-line block ×12, first 2 shown]
	v_fma_f16 v7, v7, v12, -v32
	v_fma_f16 v26, v26, v17, -v33
	;; [unrolled: 1-line block ×4, first 2 shown]
	v_fmac_f16_e32 v28, v27, v17
	v_fmac_f16_e32 v19, v22, v12
	;; [unrolled: 1-line block ×4, first 2 shown]
	v_fma_f16 v5, v5, v15, -v34
	v_fma_f16 v9, v9, v14, -v35
	v_fmac_f16_e32 v30, v24, v14
	v_fmac_f16_e32 v29, v21, v15
	v_sub_f16_e32 v12, v7, v26
	v_sub_f16_e32 v14, v8, v11
	v_add_f16_e32 v15, v19, v28
	v_add_f16_e32 v17, v20, v31
	v_add_f16_e32 v7, v7, v26
	v_add_f16_e32 v8, v8, v11
	v_sub_f16_e32 v13, v5, v9
	v_add_f16_e32 v16, v30, v29
	v_add_f16_e32 v5, v9, v5
	v_sub_f16_e32 v9, v19, v28
	v_sub_f16_e32 v11, v29, v30
	;; [unrolled: 1-line block ×3, first 2 shown]
	v_add_f16_e32 v24, v17, v15
	v_add_f16_e32 v27, v8, v7
	v_sub_f16_e32 v20, v12, v13
	v_sub_f16_e32 v21, v13, v14
	v_add_f16_e32 v13, v13, v14
	v_sub_f16_e32 v22, v15, v16
	v_sub_f16_e32 v23, v16, v17
	;; [unrolled: 1-line block ×6, first 2 shown]
	v_add_f16_e32 v11, v11, v19
	v_sub_f16_e32 v14, v14, v12
	v_sub_f16_e32 v7, v8, v7
	;; [unrolled: 1-line block ×3, first 2 shown]
	v_add_f16_e32 v16, v16, v24
	v_add_f16_e32 v5, v5, v27
	v_sub_f16_e32 v15, v17, v15
	v_mul_f16_e32 v17, 0xb846, v21
	v_add_f16_e32 v12, v13, v12
	v_mul_f16_e32 v13, 0x3a52, v22
	v_mul_f16_e32 v21, 0x3a52, v25
	;; [unrolled: 1-line block ×3, first 2 shown]
	v_add_f16_e32 v9, v11, v9
	v_mul_f16_e32 v11, 0x3b00, v14
	v_mul_f16_e32 v25, 0x3b00, v8
	v_add_f16_e32 v4, v4, v16
	v_add_f16_e32 v6, v6, v5
	v_mul_f16_e32 v19, 0x2b26, v23
	v_mul_f16_e32 v22, 0x2b26, v26
	v_fmamk_f16 v27, v20, 0x3574, v17
	v_fmamk_f16 v23, v23, 0x2b26, v13
	v_fmamk_f16 v26, v26, 0x2b26, v21
	v_fmamk_f16 v29, v28, 0x3574, v24
	v_fma_f16 v11, v20, 0xb574, -v11
	v_fma_f16 v20, v7, 0xb9e0, -v21
	;; [unrolled: 1-line block ×4, first 2 shown]
	v_fmamk_f16 v16, v16, 0xbcab, v4
	v_fmamk_f16 v5, v5, 0xbcab, v6
	v_fma_f16 v13, v15, 0xb9e0, -v13
	v_fma_f16 v15, v15, 0x39e0, -v19
	;; [unrolled: 1-line block ×4, first 2 shown]
	v_fmac_f16_e32 v27, 0x370e, v12
	v_fmac_f16_e32 v29, 0x370e, v9
	;; [unrolled: 1-line block ×4, first 2 shown]
	v_pack_b32_f16 v4, v6, v4
	v_add_f16_e32 v6, v23, v16
	v_add_f16_e32 v9, v26, v5
	v_fmac_f16_e32 v11, 0x370e, v12
	v_fmac_f16_e32 v14, 0x370e, v12
	v_add_f16_e32 v12, v13, v16
	v_add_f16_e32 v13, v20, v5
	;; [unrolled: 1-line block ×5, first 2 shown]
	v_sub_f16_e32 v16, v9, v29
	v_sub_f16_e32 v6, v6, v27
	v_add_f16_e32 v9, v29, v9
	v_add_f16_e32 v17, v11, v12
	v_sub_f16_e32 v19, v15, v14
	v_add_f16_e32 v14, v14, v15
	v_sub_f16_e32 v11, v12, v11
	;; [unrolled: 2-line block ×4, first 2 shown]
	v_pack_b32_f16 v6, v9, v6
	v_pack_b32_f16 v9, v12, v11
	;; [unrolled: 1-line block ×6, first 2 shown]
	ds_store_2addr_b32 v18, v4, v6 offset0:63 offset1:171
	ds_store_2addr_b32 v1, v9, v11 offset0:23 offset1:131
	;; [unrolled: 1-line block ×3, first 2 shown]
	ds_store_b32 v18, v7 offset:2844
.LBB0_21:
	s_wait_alu 0xfffe
	s_or_b32 exec_lo, exec_lo, s1
	global_wb scope:SCOPE_SE
	s_wait_dscnt 0x0
	s_barrier_signal -1
	s_barrier_wait -1
	global_inv scope:SCOPE_SE
	s_and_saveexec_b32 s0, vcc_lo
	s_cbranch_execz .LBB0_23
; %bb.22:
	v_dual_mov_b32 v1, 0 :: v_dual_add_nc_u32 v4, 63, v0
	v_add_co_u32 v36, vcc_lo, s8, v2
	s_wait_alu 0xfffd
	v_add_co_ci_u32_e32 v37, vcc_lo, s9, v3, vcc_lo
	s_delay_alu instid0(VALU_DEP_3) | instskip(SKIP_2) | instid1(VALU_DEP_3)
	v_dual_mov_b32 v5, v1 :: v_dual_add_nc_u32 v8, 0x7e, v0
	v_lshlrev_b64_e32 v[2:3], 2, v[0:1]
	v_dual_mov_b32 v9, v1 :: v_dual_add_nc_u32 v12, 0xbd, v0
	v_lshlrev_b64_e32 v[4:5], 2, v[4:5]
	v_dual_mov_b32 v13, v1 :: v_dual_add_nc_u32 v14, 0xfc, v0
	s_delay_alu instid0(VALU_DEP_4) | instskip(NEXT) | instid1(VALU_DEP_4)
	v_add_co_u32 v2, vcc_lo, v36, v2
	v_lshlrev_b64_e32 v[8:9], 2, v[8:9]
	v_lshl_add_u32 v34, v0, 2, 0
	v_mov_b32_e32 v15, v1
	s_wait_alu 0xfffd
	v_add_co_ci_u32_e32 v3, vcc_lo, v37, v3, vcc_lo
	v_add_co_u32 v4, vcc_lo, v36, v4
	v_add_nc_u32_e32 v18, 0x200, v34
	v_lshlrev_b64_e32 v[12:13], 2, v[12:13]
	v_dual_mov_b32 v17, v1 :: v_dual_add_nc_u32 v16, 0x13b, v0
	s_wait_alu 0xfffd
	v_add_co_ci_u32_e32 v5, vcc_lo, v37, v5, vcc_lo
	v_add_co_u32 v8, vcc_lo, v36, v8
	v_lshlrev_b64_e32 v[14:15], 2, v[14:15]
	v_dual_mov_b32 v21, v1 :: v_dual_add_nc_u32 v20, 0x17a, v0
	s_wait_alu 0xfffd
	v_add_co_ci_u32_e32 v9, vcc_lo, v37, v9, vcc_lo
	v_add_co_u32 v12, vcc_lo, v36, v12
	v_lshlrev_b64_e32 v[16:17], 2, v[16:17]
	v_dual_mov_b32 v25, v1 :: v_dual_add_nc_u32 v22, 0x400, v34
	v_dual_mov_b32 v27, v1 :: v_dual_add_nc_u32 v24, 0x1b9, v0
	s_wait_alu 0xfffd
	v_add_co_ci_u32_e32 v13, vcc_lo, v37, v13, vcc_lo
	v_add_co_u32 v14, vcc_lo, v36, v14
	v_lshlrev_b64_e32 v[20:21], 2, v[20:21]
	v_dual_mov_b32 v29, v1 :: v_dual_add_nc_u32 v26, 0x1f8, v0
	s_wait_alu 0xfffd
	v_add_co_ci_u32_e32 v15, vcc_lo, v37, v15, vcc_lo
	ds_load_2addr_b32 v[6:7], v34 offset1:63
	v_add_co_u32 v16, vcc_lo, v36, v16
	v_lshlrev_b64_e32 v[24:25], 2, v[24:25]
	v_add_nc_u32_e32 v28, 0x237, v0
	ds_load_2addr_b32 v[10:11], v34 offset0:126 offset1:189
	s_wait_alu 0xfffd
	v_add_co_ci_u32_e32 v17, vcc_lo, v37, v17, vcc_lo
	v_add_co_u32 v20, vcc_lo, v36, v20
	v_dual_mov_b32 v33, v1 :: v_dual_add_nc_u32 v30, 0x600, v34
	v_lshlrev_b64_e32 v[26:27], 2, v[26:27]
	ds_load_2addr_b32 v[18:19], v18 offset0:124 offset1:187
	v_add_nc_u32_e32 v32, 0x276, v0
	s_wait_alu 0xfffd
	v_add_co_ci_u32_e32 v21, vcc_lo, v37, v21, vcc_lo
	v_add_nc_u32_e32 v34, 0x800, v34
	ds_load_2addr_b32 v[22:23], v22 offset0:122 offset1:185
	v_add_co_u32 v24, vcc_lo, v36, v24
	v_lshlrev_b64_e32 v[28:29], 2, v[28:29]
	v_add_nc_u32_e32 v0, 0x2b5, v0
	s_wait_alu 0xfffd
	v_add_co_ci_u32_e32 v25, vcc_lo, v37, v25, vcc_lo
	ds_load_2addr_b32 v[30:31], v30 offset0:120 offset1:183
	v_add_co_u32 v26, vcc_lo, v36, v26
	v_lshlrev_b64_e32 v[32:33], 2, v[32:33]
	ds_load_2addr_b32 v[34:35], v34 offset0:118 offset1:181
	s_wait_alu 0xfffd
	v_add_co_ci_u32_e32 v27, vcc_lo, v37, v27, vcc_lo
	v_add_co_u32 v28, vcc_lo, v36, v28
	v_lshlrev_b64_e32 v[0:1], 2, v[0:1]
	s_wait_alu 0xfffd
	v_add_co_ci_u32_e32 v29, vcc_lo, v37, v29, vcc_lo
	v_add_co_u32 v32, vcc_lo, v36, v32
	s_wait_alu 0xfffd
	v_add_co_ci_u32_e32 v33, vcc_lo, v37, v33, vcc_lo
	v_add_co_u32 v0, vcc_lo, v36, v0
	s_wait_alu 0xfffd
	v_add_co_ci_u32_e32 v1, vcc_lo, v37, v1, vcc_lo
	s_wait_dscnt 0x5
	s_clause 0x1
	global_store_b32 v[2:3], v6, off
	global_store_b32 v[4:5], v7, off
	s_wait_dscnt 0x4
	s_clause 0x1
	global_store_b32 v[8:9], v10, off
	global_store_b32 v[12:13], v11, off
	;; [unrolled: 4-line block ×6, first 2 shown]
.LBB0_23:
	s_nop 0
	s_sendmsg sendmsg(MSG_DEALLOC_VGPRS)
	s_endpgm
	.section	.rodata,"a",@progbits
	.p2align	6, 0x0
	.amdhsa_kernel fft_rtc_fwd_len756_factors_2_2_3_3_3_7_wgs_63_tpt_63_half_ip_CI_unitstride_sbrr_C2R_dirReg
		.amdhsa_group_segment_fixed_size 0
		.amdhsa_private_segment_fixed_size 0
		.amdhsa_kernarg_size 88
		.amdhsa_user_sgpr_count 2
		.amdhsa_user_sgpr_dispatch_ptr 0
		.amdhsa_user_sgpr_queue_ptr 0
		.amdhsa_user_sgpr_kernarg_segment_ptr 1
		.amdhsa_user_sgpr_dispatch_id 0
		.amdhsa_user_sgpr_private_segment_size 0
		.amdhsa_wavefront_size32 1
		.amdhsa_uses_dynamic_stack 0
		.amdhsa_enable_private_segment 0
		.amdhsa_system_sgpr_workgroup_id_x 1
		.amdhsa_system_sgpr_workgroup_id_y 0
		.amdhsa_system_sgpr_workgroup_id_z 0
		.amdhsa_system_sgpr_workgroup_info 0
		.amdhsa_system_vgpr_workitem_id 0
		.amdhsa_next_free_vgpr 77
		.amdhsa_next_free_sgpr 32
		.amdhsa_reserve_vcc 1
		.amdhsa_float_round_mode_32 0
		.amdhsa_float_round_mode_16_64 0
		.amdhsa_float_denorm_mode_32 3
		.amdhsa_float_denorm_mode_16_64 3
		.amdhsa_fp16_overflow 0
		.amdhsa_workgroup_processor_mode 1
		.amdhsa_memory_ordered 1
		.amdhsa_forward_progress 0
		.amdhsa_round_robin_scheduling 0
		.amdhsa_exception_fp_ieee_invalid_op 0
		.amdhsa_exception_fp_denorm_src 0
		.amdhsa_exception_fp_ieee_div_zero 0
		.amdhsa_exception_fp_ieee_overflow 0
		.amdhsa_exception_fp_ieee_underflow 0
		.amdhsa_exception_fp_ieee_inexact 0
		.amdhsa_exception_int_div_zero 0
	.end_amdhsa_kernel
	.text
.Lfunc_end0:
	.size	fft_rtc_fwd_len756_factors_2_2_3_3_3_7_wgs_63_tpt_63_half_ip_CI_unitstride_sbrr_C2R_dirReg, .Lfunc_end0-fft_rtc_fwd_len756_factors_2_2_3_3_3_7_wgs_63_tpt_63_half_ip_CI_unitstride_sbrr_C2R_dirReg
                                        ; -- End function
	.section	.AMDGPU.csdata,"",@progbits
; Kernel info:
; codeLenInByte = 9928
; NumSgprs: 34
; NumVgprs: 77
; ScratchSize: 0
; MemoryBound: 0
; FloatMode: 240
; IeeeMode: 1
; LDSByteSize: 0 bytes/workgroup (compile time only)
; SGPRBlocks: 4
; VGPRBlocks: 9
; NumSGPRsForWavesPerEU: 34
; NumVGPRsForWavesPerEU: 77
; Occupancy: 16
; WaveLimiterHint : 1
; COMPUTE_PGM_RSRC2:SCRATCH_EN: 0
; COMPUTE_PGM_RSRC2:USER_SGPR: 2
; COMPUTE_PGM_RSRC2:TRAP_HANDLER: 0
; COMPUTE_PGM_RSRC2:TGID_X_EN: 1
; COMPUTE_PGM_RSRC2:TGID_Y_EN: 0
; COMPUTE_PGM_RSRC2:TGID_Z_EN: 0
; COMPUTE_PGM_RSRC2:TIDIG_COMP_CNT: 0
	.text
	.p2alignl 7, 3214868480
	.fill 96, 4, 3214868480
	.type	__hip_cuid_fcc9d4088b34bf42,@object ; @__hip_cuid_fcc9d4088b34bf42
	.section	.bss,"aw",@nobits
	.globl	__hip_cuid_fcc9d4088b34bf42
__hip_cuid_fcc9d4088b34bf42:
	.byte	0                               ; 0x0
	.size	__hip_cuid_fcc9d4088b34bf42, 1

	.ident	"AMD clang version 19.0.0git (https://github.com/RadeonOpenCompute/llvm-project roc-6.4.0 25133 c7fe45cf4b819c5991fe208aaa96edf142730f1d)"
	.section	".note.GNU-stack","",@progbits
	.addrsig
	.addrsig_sym __hip_cuid_fcc9d4088b34bf42
	.amdgpu_metadata
---
amdhsa.kernels:
  - .args:
      - .actual_access:  read_only
        .address_space:  global
        .offset:         0
        .size:           8
        .value_kind:     global_buffer
      - .offset:         8
        .size:           8
        .value_kind:     by_value
      - .actual_access:  read_only
        .address_space:  global
        .offset:         16
        .size:           8
        .value_kind:     global_buffer
      - .actual_access:  read_only
        .address_space:  global
        .offset:         24
        .size:           8
        .value_kind:     global_buffer
      - .offset:         32
        .size:           8
        .value_kind:     by_value
      - .actual_access:  read_only
        .address_space:  global
        .offset:         40
        .size:           8
        .value_kind:     global_buffer
      - .actual_access:  read_only
        .address_space:  global
        .offset:         48
        .size:           8
        .value_kind:     global_buffer
      - .offset:         56
        .size:           4
        .value_kind:     by_value
      - .actual_access:  read_only
        .address_space:  global
        .offset:         64
        .size:           8
        .value_kind:     global_buffer
      - .actual_access:  read_only
        .address_space:  global
        .offset:         72
        .size:           8
        .value_kind:     global_buffer
      - .address_space:  global
        .offset:         80
        .size:           8
        .value_kind:     global_buffer
    .group_segment_fixed_size: 0
    .kernarg_segment_align: 8
    .kernarg_segment_size: 88
    .language:       OpenCL C
    .language_version:
      - 2
      - 0
    .max_flat_workgroup_size: 63
    .name:           fft_rtc_fwd_len756_factors_2_2_3_3_3_7_wgs_63_tpt_63_half_ip_CI_unitstride_sbrr_C2R_dirReg
    .private_segment_fixed_size: 0
    .sgpr_count:     34
    .sgpr_spill_count: 0
    .symbol:         fft_rtc_fwd_len756_factors_2_2_3_3_3_7_wgs_63_tpt_63_half_ip_CI_unitstride_sbrr_C2R_dirReg.kd
    .uniform_work_group_size: 1
    .uses_dynamic_stack: false
    .vgpr_count:     77
    .vgpr_spill_count: 0
    .wavefront_size: 32
    .workgroup_processor_mode: 1
amdhsa.target:   amdgcn-amd-amdhsa--gfx1201
amdhsa.version:
  - 1
  - 2
...

	.end_amdgpu_metadata
